;; amdgpu-corpus repo=zjin-lcf/HeCBench kind=compiled arch=gfx1250 opt=O3
	.amdgcn_target "amdgcn-amd-amdhsa--gfx1250"
	.amdhsa_code_object_version 6
	.text
	.protected	_Z14benchmark_funcPfi   ; -- Begin function _Z14benchmark_funcPfi
	.globl	_Z14benchmark_funcPfi
	.p2align	8
	.type	_Z14benchmark_funcPfi,@function
_Z14benchmark_funcPfi:                  ; @_Z14benchmark_funcPfi
; %bb.0:
	s_clause 0x2
	s_load_b32 s2, s[0:1], 0x1c
	s_load_b32 s3, s[0:1], 0x10
	s_load_b96 s[4:6], s[0:1], 0x0
	s_wait_xcnt 0x0
	s_bfe_u32 s0, ttmp6, 0x4000c
	s_and_b32 s1, ttmp6, 15
	s_add_co_i32 s0, s0, 1
	s_getreg_b32 s7, hwreg(HW_REG_IB_STS2, 6, 4)
	s_mul_i32 s0, ttmp9, s0
	s_delay_alu instid0(SALU_CYCLE_1)
	s_add_co_i32 s0, s1, s0
	s_wait_kmcnt 0x0
	s_and_b32 s1, s2, 0xffff
	s_cmp_eq_u32 s7, 0
	s_mul_i32 s3, s3, s1
	s_cselect_b32 s0, ttmp9, s0
	s_lshl_b32 s2, s3, 3
	s_cmp_gt_i32 s6, 0
	s_mul_i32 s0, s0, s1
	s_cselect_b32 s3, -1, 0
	v_lshl_add_u32 v10, s0, 3, v0
	v_cndmask_b32_e64 v1, 0, 1, s3
	s_mov_b32 s3, 0
	s_delay_alu instid0(VALU_DEP_1)
	v_cmp_ne_u32_e64 s0, 1, v1
	s_branch .LBB0_2
.LBB0_1:                                ;   in Loop: Header=BB0_2 Depth=1
	s_wait_loadcnt 0x5
	v_dual_mov_b32 v12, v1 :: v_dual_mov_b32 v13, v2
	s_wait_loadcnt 0x2
	v_dual_mov_b32 v1, v3 :: v_dual_mov_b32 v2, v5
	s_add_co_i32 s3, s3, 1
	s_delay_alu instid0(SALU_CYCLE_1) | instskip(NEXT) | instid1(VALU_DEP_1)
	s_cmp_eq_u32 s3, 4
	v_pk_mul_f32 v[0:1], v[12:13], v[0:1]
	s_wait_loadcnt 0x1
	s_delay_alu instid0(VALU_DEP_1) | instskip(SKIP_1) | instid1(VALU_DEP_1)
	v_dual_mov_b32 v3, v6 :: v_dual_add_f32 v0, 0, v0
	s_wait_loadcnt 0x0
	v_dual_mov_b32 v5, v7 :: v_dual_add_f32 v6, v0, v1
	s_delay_alu instid0(VALU_DEP_1) | instskip(NEXT) | instid1(VALU_DEP_1)
	v_pk_mul_f32 v[0:1], v[2:3], v[4:5]
	v_add_f32_e32 v0, v6, v0
	s_delay_alu instid0(VALU_DEP_1)
	v_add_f32_e32 v0, v0, v1
	global_store_b32 v[8:9], v0, off
	s_cbranch_scc1 .LBB0_18
.LBB0_2:                                ; =>This Loop Header: Depth=1
                                        ;     Child Loop BB0_3 Depth 2
                                        ;     Child Loop BB0_5 Depth 2
	;; [unrolled: 1-line block ×8, first 2 shown]
	v_mad_u32 v2, s3, s2, v10
	s_delay_alu instid0(VALU_DEP_2)
	s_and_b32 vcc_lo, exec_lo, s0
	s_mov_b32 s7, s6
	global_load_b32 v0, v2, s[4:5] scale_offset
	s_cbranch_vccnz .LBB0_4
.LBB0_3:                                ;   Parent Loop BB0_2 Depth=1
                                        ; =>  This Inner Loop Header: Depth=2
	s_wait_loadcnt 0x0
	v_fmaak_f32 v0, v0, v0, 0x3dcccccd
	s_add_co_i32 s7, s7, -1
	s_delay_alu instid0(SALU_CYCLE_1)
	s_cmp_eq_u32 s7, 0
	s_cbranch_scc0 .LBB0_3
.LBB0_4:                                ;   in Loop: Header=BB0_2 Depth=1
	v_ashrrev_i32_e32 v3, 31, v2
	s_and_b32 vcc_lo, exec_lo, s0
	s_mov_b32 s7, s6
	s_delay_alu instid0(VALU_DEP_1)
	v_lshl_add_u64 v[8:9], v[2:3], 2, s[4:5]
	s_wait_xcnt 0x0
	v_add_nc_u32_e32 v2, s1, v2
	global_load_b32 v1, v2, s[4:5] scale_offset
	s_cbranch_vccnz .LBB0_6
.LBB0_5:                                ;   Parent Loop BB0_2 Depth=1
                                        ; =>  This Inner Loop Header: Depth=2
	s_wait_loadcnt 0x0
	v_fmaak_f32 v1, v1, v1, 0x3dcccccd
	s_add_co_i32 s7, s7, -1
	s_delay_alu instid0(SALU_CYCLE_1)
	s_cmp_lg_u32 s7, 0
	s_cbranch_scc1 .LBB0_5
.LBB0_6:                                ;   in Loop: Header=BB0_2 Depth=1
	v_add_nc_u32_e32 v3, s1, v2
	s_and_b32 vcc_lo, exec_lo, s0
	s_mov_b32 s7, s6
	global_load_b32 v2, v3, s[4:5] scale_offset
	s_cbranch_vccnz .LBB0_8
.LBB0_7:                                ;   Parent Loop BB0_2 Depth=1
                                        ; =>  This Inner Loop Header: Depth=2
	s_wait_loadcnt 0x0
	v_fmaak_f32 v2, v2, v2, 0x3dcccccd
	s_add_co_i32 s7, s7, -1
	s_delay_alu instid0(SALU_CYCLE_1)
	s_cmp_lg_u32 s7, 0
	s_cbranch_scc1 .LBB0_7
.LBB0_8:                                ;   in Loop: Header=BB0_2 Depth=1
	v_add_nc_u32_e32 v4, s1, v3
	s_and_b32 vcc_lo, exec_lo, s0
	s_mov_b32 s7, s6
	global_load_b32 v3, v4, s[4:5] scale_offset
	s_cbranch_vccnz .LBB0_10
.LBB0_9:                                ;   Parent Loop BB0_2 Depth=1
                                        ; =>  This Inner Loop Header: Depth=2
	s_wait_loadcnt 0x0
	v_fmaak_f32 v3, v3, v3, 0x3dcccccd
	s_add_co_i32 s7, s7, -1
	s_delay_alu instid0(SALU_CYCLE_1)
	s_cmp_lg_u32 s7, 0
	s_cbranch_scc1 .LBB0_9
.LBB0_10:                               ;   in Loop: Header=BB0_2 Depth=1
	v_add_nc_u32_e32 v5, s1, v4
	s_and_b32 vcc_lo, exec_lo, s0
	s_mov_b32 s7, s6
	global_load_b32 v4, v5, s[4:5] scale_offset
	s_cbranch_vccnz .LBB0_12
.LBB0_11:                               ;   Parent Loop BB0_2 Depth=1
                                        ; =>  This Inner Loop Header: Depth=2
	s_wait_loadcnt 0x0
	v_fmaak_f32 v4, v4, v4, 0x3dcccccd
	s_add_co_i32 s7, s7, -1
	s_delay_alu instid0(SALU_CYCLE_1)
	s_cmp_lg_u32 s7, 0
	s_cbranch_scc1 .LBB0_11
.LBB0_12:                               ;   in Loop: Header=BB0_2 Depth=1
	v_add_nc_u32_e32 v6, s1, v5
	s_and_b32 vcc_lo, exec_lo, s0
	s_mov_b32 s7, s6
	global_load_b32 v5, v6, s[4:5] scale_offset
	s_cbranch_vccnz .LBB0_14
.LBB0_13:                               ;   Parent Loop BB0_2 Depth=1
                                        ; =>  This Inner Loop Header: Depth=2
	s_wait_loadcnt 0x0
	v_fmaak_f32 v5, v5, v5, 0x3dcccccd
	s_add_co_i32 s7, s7, -1
	s_delay_alu instid0(SALU_CYCLE_1)
	s_cmp_lg_u32 s7, 0
	s_cbranch_scc1 .LBB0_13
.LBB0_14:                               ;   in Loop: Header=BB0_2 Depth=1
	;; [unrolled: 14-line block ×3, first 2 shown]
	s_wait_xcnt 0x0
	v_add_nc_u32_e32 v7, s1, v7
	s_and_b32 vcc_lo, exec_lo, s0
	s_mov_b32 s7, s6
	global_load_b32 v7, v7, s[4:5] scale_offset
	s_cbranch_vccnz .LBB0_1
.LBB0_17:                               ;   Parent Loop BB0_2 Depth=1
                                        ; =>  This Inner Loop Header: Depth=2
	s_wait_loadcnt 0x0
	s_wait_xcnt 0x0
	v_fmaak_f32 v7, v7, v7, 0x3dcccccd
	s_add_co_i32 s7, s7, -1
	s_delay_alu instid0(SALU_CYCLE_1)
	s_cmp_lg_u32 s7, 0
	s_cbranch_scc1 .LBB0_17
	s_branch .LBB0_1
.LBB0_18:
	s_endpgm
	.section	.rodata,"a",@progbits
	.p2align	6, 0x0
	.amdhsa_kernel _Z14benchmark_funcPfi
		.amdhsa_group_segment_fixed_size 0
		.amdhsa_private_segment_fixed_size 0
		.amdhsa_kernarg_size 272
		.amdhsa_user_sgpr_count 2
		.amdhsa_user_sgpr_dispatch_ptr 0
		.amdhsa_user_sgpr_queue_ptr 0
		.amdhsa_user_sgpr_kernarg_segment_ptr 1
		.amdhsa_user_sgpr_dispatch_id 0
		.amdhsa_user_sgpr_kernarg_preload_length 0
		.amdhsa_user_sgpr_kernarg_preload_offset 0
		.amdhsa_user_sgpr_private_segment_size 0
		.amdhsa_wavefront_size32 1
		.amdhsa_uses_dynamic_stack 0
		.amdhsa_enable_private_segment 0
		.amdhsa_system_sgpr_workgroup_id_x 1
		.amdhsa_system_sgpr_workgroup_id_y 0
		.amdhsa_system_sgpr_workgroup_id_z 0
		.amdhsa_system_sgpr_workgroup_info 0
		.amdhsa_system_vgpr_workitem_id 0
		.amdhsa_next_free_vgpr 14
		.amdhsa_next_free_sgpr 8
		.amdhsa_named_barrier_count 0
		.amdhsa_reserve_vcc 1
		.amdhsa_float_round_mode_32 0
		.amdhsa_float_round_mode_16_64 0
		.amdhsa_float_denorm_mode_32 3
		.amdhsa_float_denorm_mode_16_64 3
		.amdhsa_fp16_overflow 0
		.amdhsa_memory_ordered 1
		.amdhsa_forward_progress 1
		.amdhsa_inst_pref_size 6
		.amdhsa_round_robin_scheduling 0
		.amdhsa_exception_fp_ieee_invalid_op 0
		.amdhsa_exception_fp_denorm_src 0
		.amdhsa_exception_fp_ieee_div_zero 0
		.amdhsa_exception_fp_ieee_overflow 0
		.amdhsa_exception_fp_ieee_underflow 0
		.amdhsa_exception_fp_ieee_inexact 0
		.amdhsa_exception_int_div_zero 0
	.end_amdhsa_kernel
	.text
.Lfunc_end0:
	.size	_Z14benchmark_funcPfi, .Lfunc_end0-_Z14benchmark_funcPfi
                                        ; -- End function
	.set _Z14benchmark_funcPfi.num_vgpr, 14
	.set _Z14benchmark_funcPfi.num_agpr, 0
	.set _Z14benchmark_funcPfi.numbered_sgpr, 8
	.set _Z14benchmark_funcPfi.num_named_barrier, 0
	.set _Z14benchmark_funcPfi.private_seg_size, 0
	.set _Z14benchmark_funcPfi.uses_vcc, 1
	.set _Z14benchmark_funcPfi.uses_flat_scratch, 0
	.set _Z14benchmark_funcPfi.has_dyn_sized_stack, 0
	.set _Z14benchmark_funcPfi.has_recursion, 0
	.set _Z14benchmark_funcPfi.has_indirect_call, 0
	.section	.AMDGPU.csdata,"",@progbits
; Kernel info:
; codeLenInByte = 744
; TotalNumSgprs: 10
; NumVgprs: 14
; ScratchSize: 0
; MemoryBound: 0
; FloatMode: 240
; IeeeMode: 1
; LDSByteSize: 0 bytes/workgroup (compile time only)
; SGPRBlocks: 0
; VGPRBlocks: 0
; NumSGPRsForWavesPerEU: 10
; NumVGPRsForWavesPerEU: 14
; NamedBarCnt: 0
; Occupancy: 16
; WaveLimiterHint : 0
; COMPUTE_PGM_RSRC2:SCRATCH_EN: 0
; COMPUTE_PGM_RSRC2:USER_SGPR: 2
; COMPUTE_PGM_RSRC2:TRAP_HANDLER: 0
; COMPUTE_PGM_RSRC2:TGID_X_EN: 1
; COMPUTE_PGM_RSRC2:TGID_Y_EN: 0
; COMPUTE_PGM_RSRC2:TGID_Z_EN: 0
; COMPUTE_PGM_RSRC2:TIDIG_COMP_CNT: 0
	.text
	.p2alignl 7, 3214868480
	.fill 96, 4, 3214868480
	.section	.AMDGPU.gpr_maximums,"",@progbits
	.set amdgpu.max_num_vgpr, 0
	.set amdgpu.max_num_agpr, 0
	.set amdgpu.max_num_sgpr, 0
	.text
	.type	__hip_cuid_2f7dc3892deaf667,@object ; @__hip_cuid_2f7dc3892deaf667
	.section	.bss,"aw",@nobits
	.globl	__hip_cuid_2f7dc3892deaf667
__hip_cuid_2f7dc3892deaf667:
	.byte	0                               ; 0x0
	.size	__hip_cuid_2f7dc3892deaf667, 1

	.ident	"AMD clang version 22.0.0git (https://github.com/RadeonOpenCompute/llvm-project roc-7.2.4 26084 f58b06dce1f9c15707c5f808fd002e18c2accf7e)"
	.section	".note.GNU-stack","",@progbits
	.addrsig
	.addrsig_sym __hip_cuid_2f7dc3892deaf667
	.amdgpu_metadata
---
amdhsa.kernels:
  - .args:
      - .address_space:  global
        .offset:         0
        .size:           8
        .value_kind:     global_buffer
      - .offset:         8
        .size:           4
        .value_kind:     by_value
      - .offset:         16
        .size:           4
        .value_kind:     hidden_block_count_x
      - .offset:         20
        .size:           4
        .value_kind:     hidden_block_count_y
      - .offset:         24
        .size:           4
        .value_kind:     hidden_block_count_z
      - .offset:         28
        .size:           2
        .value_kind:     hidden_group_size_x
      - .offset:         30
        .size:           2
        .value_kind:     hidden_group_size_y
      - .offset:         32
        .size:           2
        .value_kind:     hidden_group_size_z
      - .offset:         34
        .size:           2
        .value_kind:     hidden_remainder_x
      - .offset:         36
        .size:           2
        .value_kind:     hidden_remainder_y
      - .offset:         38
        .size:           2
        .value_kind:     hidden_remainder_z
      - .offset:         56
        .size:           8
        .value_kind:     hidden_global_offset_x
      - .offset:         64
        .size:           8
        .value_kind:     hidden_global_offset_y
      - .offset:         72
        .size:           8
        .value_kind:     hidden_global_offset_z
      - .offset:         80
        .size:           2
        .value_kind:     hidden_grid_dims
    .group_segment_fixed_size: 0
    .kernarg_segment_align: 8
    .kernarg_segment_size: 272
    .language:       OpenCL C
    .language_version:
      - 2
      - 0
    .max_flat_workgroup_size: 1024
    .name:           _Z14benchmark_funcPfi
    .private_segment_fixed_size: 0
    .sgpr_count:     10
    .sgpr_spill_count: 0
    .symbol:         _Z14benchmark_funcPfi.kd
    .uniform_work_group_size: 1
    .uses_dynamic_stack: false
    .vgpr_count:     14
    .vgpr_spill_count: 0
    .wavefront_size: 32
amdhsa.target:   amdgcn-amd-amdhsa--gfx1250
amdhsa.version:
  - 1
  - 2
...

	.end_amdgpu_metadata
